;; amdgpu-corpus repo=ROCm/rocFFT kind=compiled arch=gfx906 opt=O3
	.text
	.amdgcn_target "amdgcn-amd-amdhsa--gfx906"
	.amdhsa_code_object_version 6
	.protected	fft_rtc_fwd_len1944_factors_3_3_3_3_8_3_wgs_243_tpt_243_halfLds_sp_op_CI_CI_unitstride_sbrr_dirReg ; -- Begin function fft_rtc_fwd_len1944_factors_3_3_3_3_8_3_wgs_243_tpt_243_halfLds_sp_op_CI_CI_unitstride_sbrr_dirReg
	.globl	fft_rtc_fwd_len1944_factors_3_3_3_3_8_3_wgs_243_tpt_243_halfLds_sp_op_CI_CI_unitstride_sbrr_dirReg
	.p2align	8
	.type	fft_rtc_fwd_len1944_factors_3_3_3_3_8_3_wgs_243_tpt_243_halfLds_sp_op_CI_CI_unitstride_sbrr_dirReg,@function
fft_rtc_fwd_len1944_factors_3_3_3_3_8_3_wgs_243_tpt_243_halfLds_sp_op_CI_CI_unitstride_sbrr_dirReg: ; @fft_rtc_fwd_len1944_factors_3_3_3_3_8_3_wgs_243_tpt_243_halfLds_sp_op_CI_CI_unitstride_sbrr_dirReg
; %bb.0:
	s_load_dwordx4 s[12:15], s[4:5], 0x58
	s_load_dwordx4 s[8:11], s[4:5], 0x0
	;; [unrolled: 1-line block ×3, first 2 shown]
	v_mul_u32_u24_e32 v1, 0x10e, v0
	v_mov_b32_e32 v8, 0
	v_mov_b32_e32 v2, 0
	s_waitcnt lgkmcnt(0)
	v_cmp_lt_u64_e64 s[0:1], s[10:11], 2
	v_add_u32_sdwa v10, s6, v1 dst_sel:DWORD dst_unused:UNUSED_PAD src0_sel:DWORD src1_sel:WORD_1
	v_mov_b32_e32 v11, v8
	s_and_b64 vcc, exec, s[0:1]
	v_mov_b32_e32 v3, 0
	s_cbranch_vccnz .LBB0_8
; %bb.1:
	s_load_dwordx2 s[0:1], s[4:5], 0x10
	s_add_u32 s2, s18, 8
	s_addc_u32 s3, s19, 0
	s_add_u32 s6, s16, 8
	v_mov_b32_e32 v2, 0
	s_addc_u32 s7, s17, 0
	v_mov_b32_e32 v3, 0
	s_waitcnt lgkmcnt(0)
	s_add_u32 s20, s0, 8
	v_mov_b32_e32 v5, v3
	s_addc_u32 s21, s1, 0
	s_mov_b64 s[22:23], 1
	v_mov_b32_e32 v4, v2
.LBB0_2:                                ; =>This Inner Loop Header: Depth=1
	s_load_dwordx2 s[24:25], s[20:21], 0x0
                                        ; implicit-def: $vgpr6_vgpr7
	s_waitcnt lgkmcnt(0)
	v_or_b32_e32 v9, s25, v11
	v_cmp_ne_u64_e32 vcc, 0, v[8:9]
	s_and_saveexec_b64 s[0:1], vcc
	s_xor_b64 s[26:27], exec, s[0:1]
	s_cbranch_execz .LBB0_4
; %bb.3:                                ;   in Loop: Header=BB0_2 Depth=1
	v_cvt_f32_u32_e32 v1, s24
	v_cvt_f32_u32_e32 v6, s25
	s_sub_u32 s0, 0, s24
	s_subb_u32 s1, 0, s25
	v_mac_f32_e32 v1, 0x4f800000, v6
	v_rcp_f32_e32 v1, v1
	v_mul_f32_e32 v1, 0x5f7ffffc, v1
	v_mul_f32_e32 v6, 0x2f800000, v1
	v_trunc_f32_e32 v6, v6
	v_mac_f32_e32 v1, 0xcf800000, v6
	v_cvt_u32_f32_e32 v6, v6
	v_cvt_u32_f32_e32 v1, v1
	v_mul_lo_u32 v7, s0, v6
	v_mul_hi_u32 v9, s0, v1
	v_mul_lo_u32 v13, s1, v1
	v_mul_lo_u32 v12, s0, v1
	v_add_u32_e32 v7, v9, v7
	v_add_u32_e32 v7, v7, v13
	v_mul_hi_u32 v9, v1, v12
	v_mul_lo_u32 v13, v1, v7
	v_mul_hi_u32 v15, v1, v7
	v_mul_hi_u32 v14, v6, v12
	v_mul_lo_u32 v12, v6, v12
	v_mul_hi_u32 v16, v6, v7
	v_add_co_u32_e32 v9, vcc, v9, v13
	v_addc_co_u32_e32 v13, vcc, 0, v15, vcc
	v_mul_lo_u32 v7, v6, v7
	v_add_co_u32_e32 v9, vcc, v9, v12
	v_addc_co_u32_e32 v9, vcc, v13, v14, vcc
	v_addc_co_u32_e32 v12, vcc, 0, v16, vcc
	v_add_co_u32_e32 v7, vcc, v9, v7
	v_addc_co_u32_e32 v9, vcc, 0, v12, vcc
	v_add_co_u32_e32 v1, vcc, v1, v7
	v_addc_co_u32_e32 v6, vcc, v6, v9, vcc
	v_mul_lo_u32 v7, s0, v6
	v_mul_hi_u32 v9, s0, v1
	v_mul_lo_u32 v12, s1, v1
	v_mul_lo_u32 v13, s0, v1
	v_add_u32_e32 v7, v9, v7
	v_add_u32_e32 v7, v7, v12
	v_mul_lo_u32 v14, v1, v7
	v_mul_hi_u32 v15, v1, v13
	v_mul_hi_u32 v16, v1, v7
	v_mul_hi_u32 v12, v6, v13
	v_mul_lo_u32 v13, v6, v13
	v_mul_hi_u32 v9, v6, v7
	v_add_co_u32_e32 v14, vcc, v15, v14
	v_addc_co_u32_e32 v15, vcc, 0, v16, vcc
	v_mul_lo_u32 v7, v6, v7
	v_add_co_u32_e32 v13, vcc, v14, v13
	v_addc_co_u32_e32 v12, vcc, v15, v12, vcc
	v_addc_co_u32_e32 v9, vcc, 0, v9, vcc
	v_add_co_u32_e32 v7, vcc, v12, v7
	v_addc_co_u32_e32 v9, vcc, 0, v9, vcc
	v_add_co_u32_e32 v1, vcc, v1, v7
	v_addc_co_u32_e32 v9, vcc, v6, v9, vcc
	v_mad_u64_u32 v[6:7], s[0:1], v10, v9, 0
	v_mul_hi_u32 v12, v10, v1
	v_add_co_u32_e32 v14, vcc, v12, v6
	v_addc_co_u32_e32 v15, vcc, 0, v7, vcc
	v_mad_u64_u32 v[6:7], s[0:1], v11, v1, 0
	v_mad_u64_u32 v[12:13], s[0:1], v11, v9, 0
	v_add_co_u32_e32 v1, vcc, v14, v6
	v_addc_co_u32_e32 v1, vcc, v15, v7, vcc
	v_addc_co_u32_e32 v6, vcc, 0, v13, vcc
	v_add_co_u32_e32 v1, vcc, v1, v12
	v_addc_co_u32_e32 v9, vcc, 0, v6, vcc
	v_mul_lo_u32 v12, s25, v1
	v_mul_lo_u32 v13, s24, v9
	v_mad_u64_u32 v[6:7], s[0:1], s24, v1, 0
	v_add3_u32 v7, v7, v13, v12
	v_sub_u32_e32 v12, v11, v7
	v_mov_b32_e32 v13, s25
	v_sub_co_u32_e32 v6, vcc, v10, v6
	v_subb_co_u32_e64 v12, s[0:1], v12, v13, vcc
	v_subrev_co_u32_e64 v13, s[0:1], s24, v6
	v_subbrev_co_u32_e64 v12, s[0:1], 0, v12, s[0:1]
	v_cmp_le_u32_e64 s[0:1], s25, v12
	v_cndmask_b32_e64 v14, 0, -1, s[0:1]
	v_cmp_le_u32_e64 s[0:1], s24, v13
	v_cndmask_b32_e64 v13, 0, -1, s[0:1]
	v_cmp_eq_u32_e64 s[0:1], s25, v12
	v_cndmask_b32_e64 v12, v14, v13, s[0:1]
	v_add_co_u32_e64 v13, s[0:1], 2, v1
	v_addc_co_u32_e64 v14, s[0:1], 0, v9, s[0:1]
	v_add_co_u32_e64 v15, s[0:1], 1, v1
	v_addc_co_u32_e64 v16, s[0:1], 0, v9, s[0:1]
	v_subb_co_u32_e32 v7, vcc, v11, v7, vcc
	v_cmp_ne_u32_e64 s[0:1], 0, v12
	v_cmp_le_u32_e32 vcc, s25, v7
	v_cndmask_b32_e64 v12, v16, v14, s[0:1]
	v_cndmask_b32_e64 v14, 0, -1, vcc
	v_cmp_le_u32_e32 vcc, s24, v6
	v_cndmask_b32_e64 v6, 0, -1, vcc
	v_cmp_eq_u32_e32 vcc, s25, v7
	v_cndmask_b32_e32 v6, v14, v6, vcc
	v_cmp_ne_u32_e32 vcc, 0, v6
	v_cndmask_b32_e64 v6, v15, v13, s[0:1]
	v_cndmask_b32_e32 v7, v9, v12, vcc
	v_cndmask_b32_e32 v6, v1, v6, vcc
.LBB0_4:                                ;   in Loop: Header=BB0_2 Depth=1
	s_andn2_saveexec_b64 s[0:1], s[26:27]
	s_cbranch_execz .LBB0_6
; %bb.5:                                ;   in Loop: Header=BB0_2 Depth=1
	v_cvt_f32_u32_e32 v1, s24
	s_sub_i32 s26, 0, s24
	v_rcp_iflag_f32_e32 v1, v1
	v_mul_f32_e32 v1, 0x4f7ffffe, v1
	v_cvt_u32_f32_e32 v1, v1
	v_mul_lo_u32 v6, s26, v1
	v_mul_hi_u32 v6, v1, v6
	v_add_u32_e32 v1, v1, v6
	v_mul_hi_u32 v1, v10, v1
	v_mul_lo_u32 v6, v1, s24
	v_add_u32_e32 v7, 1, v1
	v_sub_u32_e32 v6, v10, v6
	v_subrev_u32_e32 v9, s24, v6
	v_cmp_le_u32_e32 vcc, s24, v6
	v_cndmask_b32_e32 v6, v6, v9, vcc
	v_cndmask_b32_e32 v1, v1, v7, vcc
	v_add_u32_e32 v7, 1, v1
	v_cmp_le_u32_e32 vcc, s24, v6
	v_cndmask_b32_e32 v6, v1, v7, vcc
	v_mov_b32_e32 v7, v8
.LBB0_6:                                ;   in Loop: Header=BB0_2 Depth=1
	s_or_b64 exec, exec, s[0:1]
	v_mul_lo_u32 v1, v7, s24
	v_mul_lo_u32 v9, v6, s25
	v_mad_u64_u32 v[12:13], s[0:1], v6, s24, 0
	s_load_dwordx2 s[0:1], s[6:7], 0x0
	s_load_dwordx2 s[24:25], s[2:3], 0x0
	v_add3_u32 v1, v13, v9, v1
	v_sub_co_u32_e32 v9, vcc, v10, v12
	v_subb_co_u32_e32 v1, vcc, v11, v1, vcc
	s_waitcnt lgkmcnt(0)
	v_mul_lo_u32 v10, s0, v1
	v_mul_lo_u32 v11, s1, v9
	v_mad_u64_u32 v[2:3], s[0:1], s0, v9, v[2:3]
	s_add_u32 s22, s22, 1
	s_addc_u32 s23, s23, 0
	s_add_u32 s2, s2, 8
	v_mul_lo_u32 v1, s24, v1
	v_mul_lo_u32 v12, s25, v9
	v_mad_u64_u32 v[4:5], s[0:1], s24, v9, v[4:5]
	v_add3_u32 v3, v11, v3, v10
	s_addc_u32 s3, s3, 0
	v_mov_b32_e32 v9, s10
	s_add_u32 s6, s6, 8
	v_mov_b32_e32 v10, s11
	s_addc_u32 s7, s7, 0
	v_cmp_ge_u64_e32 vcc, s[22:23], v[9:10]
	s_add_u32 s20, s20, 8
	v_add3_u32 v5, v12, v5, v1
	s_addc_u32 s21, s21, 0
	s_cbranch_vccnz .LBB0_9
; %bb.7:                                ;   in Loop: Header=BB0_2 Depth=1
	v_mov_b32_e32 v11, v7
	v_mov_b32_e32 v10, v6
	s_branch .LBB0_2
.LBB0_8:
	v_mov_b32_e32 v5, v3
	v_mov_b32_e32 v6, v10
	;; [unrolled: 1-line block ×4, first 2 shown]
.LBB0_9:
	s_load_dwordx2 s[2:3], s[4:5], 0x28
	s_lshl_b64 s[6:7], s[10:11], 3
	s_add_u32 s4, s18, s6
	s_addc_u32 s5, s19, s7
                                        ; implicit-def: $vgpr29
	s_waitcnt lgkmcnt(0)
	v_cmp_gt_u64_e64 s[0:1], s[2:3], v[6:7]
	v_cmp_le_u64_e32 vcc, s[2:3], v[6:7]
	s_and_saveexec_b64 s[2:3], vcc
	s_xor_b64 s[2:3], exec, s[2:3]
; %bb.10:
	s_mov_b32 s10, 0x10db20b
	v_mul_hi_u32 v1, v0, s10
                                        ; implicit-def: $vgpr2_vgpr3
	v_mul_u32_u24_e32 v1, 0xf3, v1
	v_sub_u32_e32 v29, v0, v1
                                        ; implicit-def: $vgpr0
; %bb.11:
	s_or_saveexec_b64 s[2:3], s[2:3]
	s_load_dwordx2 s[4:5], s[4:5], 0x0
                                        ; implicit-def: $vgpr10
                                        ; implicit-def: $vgpr20
                                        ; implicit-def: $vgpr24
                                        ; implicit-def: $vgpr12
                                        ; implicit-def: $vgpr18
                                        ; implicit-def: $vgpr22
                                        ; implicit-def: $vgpr1
                                        ; implicit-def: $vgpr28
                                        ; implicit-def: $vgpr26
	s_xor_b64 exec, exec, s[2:3]
	s_cbranch_execz .LBB0_15
; %bb.12:
	s_add_u32 s6, s16, s6
	s_addc_u32 s7, s17, s7
	s_load_dwordx2 s[6:7], s[6:7], 0x0
	s_mov_b32 s10, 0x10db20b
	v_mul_hi_u32 v1, v0, s10
                                        ; implicit-def: $vgpr25
                                        ; implicit-def: $vgpr27
	s_waitcnt lgkmcnt(0)
	v_mul_lo_u32 v10, s7, v6
	v_mul_lo_u32 v11, s6, v7
	v_mad_u64_u32 v[8:9], s[6:7], s6, v6, 0
	v_mul_u32_u24_e32 v1, 0xf3, v1
	v_sub_u32_e32 v29, v0, v1
	v_add3_u32 v9, v9, v11, v10
	v_lshlrev_b64 v[0:1], 3, v[8:9]
	v_mov_b32_e32 v8, s13
	v_add_co_u32_e32 v9, vcc, s12, v0
	v_addc_co_u32_e32 v8, vcc, v8, v1, vcc
	v_lshlrev_b64 v[0:1], 3, v[2:3]
	v_lshlrev_b32_e32 v2, 3, v29
	v_add_co_u32_e32 v0, vcc, v9, v0
	v_addc_co_u32_e32 v1, vcc, v8, v1, vcc
	v_add_co_u32_e32 v2, vcc, v0, v2
	v_addc_co_u32_e32 v3, vcc, 0, v1, vcc
	s_movk_i32 s6, 0x1000
	v_add_co_u32_e32 v0, vcc, s6, v2
	v_addc_co_u32_e32 v1, vcc, 0, v3, vcc
	s_movk_i32 s6, 0x2000
	v_add_co_u32_e32 v13, vcc, s6, v2
	v_addc_co_u32_e32 v14, vcc, 0, v3, vcc
	global_load_dwordx2 v[9:10], v[2:3], off
	global_load_dwordx2 v[17:18], v[0:1], off offset:3032
	global_load_dwordx2 v[19:20], v[0:1], off offset:1088
	;; [unrolled: 1-line block ×3, first 2 shown]
	v_add_co_u32_e32 v0, vcc, 0x3000, v2
	v_addc_co_u32_e32 v1, vcc, 0, v3, vcc
	global_load_dwordx2 v[23:24], v[13:14], off offset:2176
	global_load_dwordx2 v[21:22], v[0:1], off offset:24
	s_movk_i32 s6, 0xa2
	v_cmp_gt_u32_e32 vcc, s6, v29
                                        ; implicit-def: $vgpr0
	s_and_saveexec_b64 s[6:7], vcc
	s_cbranch_execz .LBB0_14
; %bb.13:
	v_add_co_u32_e32 v13, vcc, 0x2000, v2
	v_addc_co_u32_e32 v14, vcc, 0, v3, vcc
	v_add_co_u32_e32 v15, vcc, 0x3000, v2
	v_addc_co_u32_e32 v16, vcc, 0, v3, vcc
	global_load_dwordx2 v[0:1], v[2:3], off offset:3888
	global_load_dwordx2 v[25:26], v[13:14], off offset:880
	;; [unrolled: 1-line block ×3, first 2 shown]
.LBB0_14:
	s_or_b64 exec, exec, s[6:7]
.LBB0_15:
	s_or_b64 exec, exec, s[2:3]
	s_waitcnt vmcnt(2)
	v_add_f32_e32 v2, v11, v17
	s_waitcnt vmcnt(0)
	v_add_f32_e32 v3, v2, v21
	v_add_f32_e32 v2, v17, v21
	v_fmac_f32_e32 v11, -0.5, v2
	v_sub_f32_e32 v8, v18, v22
	v_mov_b32_e32 v13, v11
	v_mad_u32_u24 v2, v29, 12, 0
	v_fmac_f32_e32 v13, 0x3f5db3d7, v8
	v_add_u32_e32 v14, 0xb64, v2
	ds_write2_b32 v14, v3, v13 offset1:1
	v_add_f32_e32 v13, v19, v23
	v_add_f32_e32 v3, v9, v19
	v_fmac_f32_e32 v9, -0.5, v13
	v_sub_f32_e32 v13, v20, v24
	v_mov_b32_e32 v14, v9
	v_fmac_f32_e32 v14, 0x3f5db3d7, v13
	v_fmac_f32_e32 v9, 0xbf5db3d7, v13
	v_add_f32_e32 v13, v27, v25
	v_fmac_f32_e32 v11, 0xbf5db3d7, v8
	v_add_f32_e32 v8, v0, v25
	v_fmac_f32_e32 v0, -0.5, v13
	v_sub_f32_e32 v13, v26, v28
	v_mov_b32_e32 v32, v0
	s_movk_i32 s2, 0xa2
	v_fmac_f32_e32 v32, 0x3f5db3d7, v13
	v_fmac_f32_e32 v0, 0xbf5db3d7, v13
	v_add_f32_e32 v3, v3, v23
	v_add_f32_e32 v31, v27, v8
	v_cmp_gt_u32_e64 s[2:3], s2, v29
	ds_write2_b32 v2, v3, v14 offset1:1
	ds_write_b32 v2, v9 offset:8
	ds_write_b32 v2, v11 offset:2924
	s_and_saveexec_b64 s[6:7], s[2:3]
	s_cbranch_execz .LBB0_17
; %bb.16:
	v_add_u32_e32 v3, 0x16c8, v2
	ds_write2_b32 v3, v31, v32 offset1:1
	ds_write_b32 v2, v0 offset:5840
.LBB0_17:
	s_or_b64 exec, exec, s[6:7]
	v_lshlrev_b32_e32 v3, 3, v29
	v_sub_u32_e32 v30, v2, v3
	v_add_u32_e32 v3, 0xa00, v30
	s_waitcnt lgkmcnt(0)
	s_barrier
	ds_read2_b32 v[13:14], v3 offset0:8 offset1:251
	v_add_u32_e32 v3, 0x1440, v30
	ds_read2_b32 v[8:9], v30 offset1:243
	ds_read2_b32 v[15:16], v3 offset1:243
	s_and_saveexec_b64 s[6:7], s[2:3]
	s_cbranch_execz .LBB0_19
; %bb.18:
	ds_read_b32 v31, v30 offset:1944
	ds_read_b32 v32, v30 offset:4536
	;; [unrolled: 1-line block ×3, first 2 shown]
.LBB0_19:
	s_or_b64 exec, exec, s[6:7]
	v_add_f32_e32 v11, v20, v24
	v_add_f32_e32 v3, v10, v20
	v_fmac_f32_e32 v10, -0.5, v11
	v_sub_f32_e32 v11, v19, v23
	v_mov_b32_e32 v23, v10
	v_fmac_f32_e32 v23, 0xbf5db3d7, v11
	v_fmac_f32_e32 v10, 0x3f5db3d7, v11
	v_add_f32_e32 v11, v12, v18
	v_add_f32_e32 v18, v18, v22
	v_fmac_f32_e32 v12, -0.5, v18
	v_sub_f32_e32 v17, v17, v21
	v_mov_b32_e32 v18, v12
	v_fmac_f32_e32 v18, 0xbf5db3d7, v17
	v_fmac_f32_e32 v12, 0x3f5db3d7, v17
	v_add_f32_e32 v17, v1, v26
	v_add_f32_e32 v19, v28, v17
	;; [unrolled: 1-line block ×3, first 2 shown]
	v_fmac_f32_e32 v1, -0.5, v17
	v_add_f32_e32 v3, v3, v24
	v_sub_f32_e32 v17, v25, v27
	v_mov_b32_e32 v20, v1
	v_add_f32_e32 v11, v11, v22
	v_fmac_f32_e32 v20, 0xbf5db3d7, v17
	v_fmac_f32_e32 v1, 0x3f5db3d7, v17
	s_waitcnt lgkmcnt(0)
	s_barrier
	ds_write2_b32 v2, v3, v23 offset1:1
	ds_write_b32 v2, v10 offset:8
	v_add_u32_e32 v3, 0xb64, v2
	ds_write2_b32 v3, v11, v18 offset1:1
	ds_write_b32 v2, v12 offset:2924
	s_and_saveexec_b64 s[6:7], s[2:3]
	s_cbranch_execz .LBB0_21
; %bb.20:
	v_add_u32_e32 v3, 0x16c8, v2
	ds_write2_b32 v3, v19, v20 offset1:1
	ds_write_b32 v2, v1 offset:5840
.LBB0_21:
	s_or_b64 exec, exec, s[6:7]
	v_add_u32_e32 v10, 0xa00, v30
	v_add_u32_e32 v12, 0x1440, v30
	s_waitcnt lgkmcnt(0)
	s_barrier
	ds_read2_b32 v[2:3], v30 offset1:243
	ds_read2_b32 v[10:11], v10 offset0:8 offset1:251
	ds_read2_b32 v[17:18], v12 offset1:243
	s_and_saveexec_b64 s[6:7], s[2:3]
	s_cbranch_execz .LBB0_23
; %bb.22:
	ds_read_b32 v19, v30 offset:1944
	ds_read_b32 v20, v30 offset:4536
	;; [unrolled: 1-line block ×3, first 2 shown]
.LBB0_23:
	s_or_b64 exec, exec, s[6:7]
	s_movk_i32 s6, 0xab
	v_mul_lo_u16_sdwa v12, v29, s6 dst_sel:DWORD dst_unused:UNUSED_PAD src0_sel:BYTE_0 src1_sel:DWORD
	v_add_u32_e32 v23, 0xf3, v29
	s_mov_b32 s6, 0xaaab
	v_lshrrev_b16_e32 v12, 9, v12
	v_mul_u32_u24_sdwa v24, v23, s6 dst_sel:DWORD dst_unused:UNUSED_PAD src0_sel:WORD_0 src1_sel:DWORD
	v_mul_lo_u16_e32 v21, 3, v12
	v_lshrrev_b32_e32 v24, 17, v24
	v_sub_u16_e32 v21, v29, v21
	v_mov_b32_e32 v22, 4
	v_mul_lo_u16_e32 v25, 3, v24
	v_lshlrev_b32_sdwa v22, v22, v21 dst_sel:DWORD dst_unused:UNUSED_PAD src0_sel:DWORD src1_sel:BYTE_0
	v_sub_u16_e32 v25, v23, v25
	v_lshlrev_b32_e32 v26, 4, v25
	global_load_dwordx4 v[37:40], v22, s[8:9]
	global_load_dwordx4 v[41:44], v26, s[8:9]
	v_add_u32_e32 v22, 0x1e6, v29
	v_mul_u32_u24_sdwa v26, v22, s6 dst_sel:DWORD dst_unused:UNUSED_PAD src0_sel:WORD_0 src1_sel:DWORD
	v_lshrrev_b32_e32 v26, 17, v26
	v_mul_lo_u16_e32 v27, 3, v26
	v_sub_u16_e32 v49, v22, v27
	v_lshlrev_b32_e32 v27, 4, v49
	global_load_dwordx4 v[45:48], v27, s[8:9]
	v_mov_b32_e32 v27, 2
	v_mul_u32_u24_e32 v28, 36, v12
	v_mul_u32_u24_e32 v24, 36, v24
	v_mul_lo_u16_e32 v12, 9, v26
	v_lshlrev_b32_sdwa v21, v27, v21 dst_sel:DWORD dst_unused:UNUSED_PAD src0_sel:DWORD src1_sel:BYTE_0
	v_lshlrev_b32_e32 v26, 2, v25
	v_add3_u32 v25, 0, v28, v21
	v_add3_u32 v21, 0, v24, v26
	s_waitcnt vmcnt(0) lgkmcnt(0)
	s_barrier
	v_mul_f32_e32 v33, v13, v38
	v_mul_f32_e32 v24, v10, v38
	;; [unrolled: 1-line block ×6, first 2 shown]
	v_fmac_f32_e32 v33, v10, v37
	v_mul_f32_e32 v40, v18, v44
	v_mul_f32_e32 v42, v20, v46
	;; [unrolled: 1-line block ×3, first 2 shown]
	v_fma_f32 v36, v13, v37, -v24
	v_fma_f32 v37, v15, v39, -v35
	v_fmac_f32_e32 v34, v17, v39
	v_fma_f32 v17, v14, v41, -v38
	v_fma_f32 v14, v32, v45, -v42
	;; [unrolled: 1-line block ×3, first 2 shown]
	v_mul_f32_e32 v28, v16, v44
	v_mul_f32_e32 v26, v32, v46
	;; [unrolled: 1-line block ×3, first 2 shown]
	v_fma_f32 v35, v16, v43, -v40
	v_add_f32_e32 v24, v14, v15
	v_fmac_f32_e32 v28, v18, v43
	v_fmac_f32_e32 v26, v20, v45
	;; [unrolled: 1-line block ×3, first 2 shown]
	v_add_f32_e32 v1, v36, v37
	v_add_f32_e32 v16, v17, v35
	;; [unrolled: 1-line block ×3, first 2 shown]
	v_fmac_f32_e32 v31, -0.5, v24
	v_fmac_f32_e32 v27, v11, v41
	v_sub_f32_e32 v10, v33, v34
	v_add_f32_e32 v11, v9, v17
	v_sub_f32_e32 v32, v26, v13
	v_fma_f32 v1, -0.5, v1, v8
	v_fmac_f32_e32 v9, -0.5, v16
	v_add_f32_e32 v16, v18, v15
	v_mov_b32_e32 v18, v31
	v_add_f32_e32 v0, v8, v36
	v_sub_f32_e32 v20, v27, v28
	v_add_f32_e32 v8, v11, v35
	v_mov_b32_e32 v11, v1
	v_fmac_f32_e32 v1, 0xbf5db3d7, v10
	v_mov_b32_e32 v24, v9
	v_fmac_f32_e32 v31, 0xbf5db3d7, v32
	v_fmac_f32_e32 v18, 0x3f5db3d7, v32
	v_lshlrev_b32_e32 v32, 2, v49
	v_add_f32_e32 v0, v0, v37
	v_fmac_f32_e32 v9, 0xbf5db3d7, v20
	v_fmac_f32_e32 v11, 0x3f5db3d7, v10
	;; [unrolled: 1-line block ×3, first 2 shown]
	ds_write_b32 v25, v1 offset:24
	ds_write2_b32 v25, v0, v11 offset1:3
	ds_write2_b32 v21, v8, v24 offset1:3
	ds_write_b32 v21, v9 offset:24
	s_and_saveexec_b64 s[6:7], s[2:3]
	s_cbranch_execz .LBB0_25
; %bb.24:
	v_lshlrev_b32_e32 v0, 2, v12
	v_add3_u32 v0, 0, v32, v0
	ds_write2_b32 v0, v16, v18 offset1:3
	ds_write_b32 v0, v31 offset:24
.LBB0_25:
	s_or_b64 exec, exec, s[6:7]
	v_add_u32_e32 v8, 0xa00, v30
	v_add_u32_e32 v10, 0x1440, v30
	s_waitcnt lgkmcnt(0)
	s_barrier
	ds_read2_b32 v[0:1], v30 offset1:243
	ds_read2_b32 v[8:9], v8 offset0:8 offset1:251
	ds_read2_b32 v[10:11], v10 offset1:243
	v_lshl_add_u32 v24, v29, 2, 0
	s_and_saveexec_b64 s[6:7], s[2:3]
	s_cbranch_execz .LBB0_27
; %bb.26:
	ds_read_b32 v18, v30 offset:4536
	ds_read_b32 v16, v24 offset:1944
	;; [unrolled: 1-line block ×3, first 2 shown]
.LBB0_27:
	s_or_b64 exec, exec, s[6:7]
	v_add_f32_e32 v20, v2, v33
	v_add_f32_e32 v38, v20, v34
	;; [unrolled: 1-line block ×3, first 2 shown]
	v_fma_f32 v2, -0.5, v20, v2
	v_sub_f32_e32 v20, v36, v37
	v_mov_b32_e32 v33, v2
	v_fmac_f32_e32 v33, 0xbf5db3d7, v20
	v_fmac_f32_e32 v2, 0x3f5db3d7, v20
	v_add_f32_e32 v20, v3, v27
	v_add_f32_e32 v34, v20, v28
	;; [unrolled: 1-line block ×3, first 2 shown]
	v_fmac_f32_e32 v3, -0.5, v20
	v_sub_f32_e32 v17, v17, v35
	v_mov_b32_e32 v27, v3
	v_fmac_f32_e32 v27, 0xbf5db3d7, v17
	v_fmac_f32_e32 v3, 0x3f5db3d7, v17
	v_add_f32_e32 v17, v19, v26
	v_add_f32_e32 v17, v17, v13
	;; [unrolled: 1-line block ×3, first 2 shown]
	v_fmac_f32_e32 v19, -0.5, v13
	v_sub_f32_e32 v13, v14, v15
	v_mov_b32_e32 v20, v19
	v_fmac_f32_e32 v20, 0xbf5db3d7, v13
	v_fmac_f32_e32 v19, 0x3f5db3d7, v13
	s_waitcnt lgkmcnt(0)
	s_barrier
	ds_write2_b32 v25, v38, v33 offset1:3
	ds_write_b32 v25, v2 offset:24
	ds_write2_b32 v21, v34, v27 offset1:3
	ds_write_b32 v21, v3 offset:24
	s_and_saveexec_b64 s[6:7], s[2:3]
	s_cbranch_execz .LBB0_29
; %bb.28:
	v_lshlrev_b32_e32 v2, 2, v12
	v_add3_u32 v2, 0, v32, v2
	ds_write2_b32 v2, v17, v20 offset1:3
	ds_write_b32 v2, v19 offset:24
.LBB0_29:
	s_or_b64 exec, exec, s[6:7]
	v_add_u32_e32 v12, 0xa00, v30
	v_add_u32_e32 v14, 0x1440, v30
	s_waitcnt lgkmcnt(0)
	s_barrier
	ds_read2_b32 v[2:3], v30 offset1:243
	ds_read2_b32 v[12:13], v12 offset0:8 offset1:251
	ds_read2_b32 v[14:15], v14 offset1:243
	s_and_saveexec_b64 s[6:7], s[2:3]
	s_cbranch_execz .LBB0_31
; %bb.30:
	ds_read_b32 v20, v30 offset:4536
	ds_read_b32 v17, v24 offset:1944
	;; [unrolled: 1-line block ×3, first 2 shown]
.LBB0_31:
	s_or_b64 exec, exec, s[6:7]
	v_mov_b32_e32 v21, 57
	v_mul_lo_u16_sdwa v21, v29, v21 dst_sel:DWORD dst_unused:UNUSED_PAD src0_sel:BYTE_0 src1_sel:DWORD
	v_lshrrev_b16_e32 v21, 9, v21
	v_mul_lo_u16_e32 v25, 9, v21
	s_mov_b32 s6, 0xe38f
	v_sub_u16_e32 v25, v29, v25
	v_mov_b32_e32 v26, 4
	v_mul_u32_u24_sdwa v27, v23, s6 dst_sel:DWORD dst_unused:UNUSED_PAD src0_sel:WORD_0 src1_sel:DWORD
	v_lshlrev_b32_sdwa v26, v26, v25 dst_sel:DWORD dst_unused:UNUSED_PAD src0_sel:DWORD src1_sel:BYTE_0
	v_lshrrev_b32_e32 v27, 19, v27
	global_load_dwordx4 v[38:41], v26, s[8:9] offset:48
	v_mul_lo_u16_e32 v26, 9, v27
	v_mul_u32_u24_sdwa v28, v22, s6 dst_sel:DWORD dst_unused:UNUSED_PAD src0_sel:WORD_0 src1_sel:DWORD
	v_sub_u16_e32 v26, v23, v26
	v_lshrrev_b32_e32 v28, 19, v28
	v_lshlrev_b32_e32 v32, 4, v26
	global_load_dwordx4 v[42:45], v32, s[8:9] offset:48
	v_mul_lo_u16_e32 v32, 9, v28
	v_sub_u16_e32 v50, v22, v32
	v_lshlrev_b32_e32 v32, 4, v50
	global_load_dwordx4 v[46:49], v32, s[8:9] offset:48
	v_mov_b32_e32 v32, 2
	v_mul_u32_u24_e32 v33, 0x6c, v21
	v_mul_u32_u24_e32 v34, 0x6c, v27
	v_lshlrev_b32_sdwa v25, v32, v25 dst_sel:DWORD dst_unused:UNUSED_PAD src0_sel:DWORD src1_sel:BYTE_0
	v_lshlrev_b32_e32 v26, 2, v26
	v_add3_u32 v27, 0, v33, v25
	v_add3_u32 v26, 0, v34, v26
	v_mul_lo_u16_e32 v21, 27, v28
	s_waitcnt vmcnt(0) lgkmcnt(0)
	s_barrier
	v_mul_f32_e32 v35, v12, v39
	v_mul_f32_e32 v33, v8, v39
	;; [unrolled: 1-line block ×4, first 2 shown]
	v_fma_f32 v37, v8, v38, -v35
	v_fmac_f32_e32 v33, v12, v38
	v_mul_f32_e32 v39, v13, v43
	v_mul_f32_e32 v41, v15, v45
	;; [unrolled: 1-line block ×5, first 2 shown]
	v_fma_f32 v38, v10, v40, -v36
	v_mul_f32_e32 v8, v19, v49
	v_fma_f32 v35, v9, v42, -v39
	v_fma_f32 v36, v11, v44, -v41
	v_mul_f32_e32 v25, v18, v47
	v_fmac_f32_e32 v34, v14, v40
	v_fmac_f32_e32 v28, v13, v42
	;; [unrolled: 1-line block ×3, first 2 shown]
	v_fma_f32 v13, v18, v46, -v43
	v_fma_f32 v14, v31, v48, -v8
	v_add_f32_e32 v15, v35, v36
	v_mul_f32_e32 v12, v31, v49
	v_fmac_f32_e32 v25, v20, v46
	v_add_f32_e32 v9, v37, v38
	v_add_f32_e32 v11, v1, v35
	;; [unrolled: 1-line block ×3, first 2 shown]
	v_fmac_f32_e32 v1, -0.5, v15
	v_fmac_f32_e32 v12, v19, v48
	v_add_f32_e32 v8, v0, v37
	v_sub_f32_e32 v10, v33, v34
	v_sub_f32_e32 v19, v28, v32
	v_add_f32_e32 v18, v16, v13
	v_fma_f32 v0, -0.5, v9, v0
	v_fmac_f32_e32 v16, -0.5, v20
	v_mov_b32_e32 v15, v1
	v_sub_f32_e32 v31, v25, v12
	v_add_f32_e32 v9, v11, v36
	v_mov_b32_e32 v11, v0
	v_fmac_f32_e32 v0, 0xbf5db3d7, v10
	v_mov_b32_e32 v20, v16
	v_fmac_f32_e32 v15, 0x3f5db3d7, v19
	v_add_f32_e32 v8, v8, v38
	v_add_f32_e32 v18, v18, v14
	v_fmac_f32_e32 v1, 0xbf5db3d7, v19
	v_fmac_f32_e32 v16, 0xbf5db3d7, v31
	;; [unrolled: 1-line block ×4, first 2 shown]
	ds_write_b32 v27, v0 offset:72
	ds_write2_b32 v27, v8, v11 offset1:9
	ds_write2_b32 v26, v9, v15 offset1:9
	ds_write_b32 v26, v1 offset:72
	v_lshlrev_b32_e32 v15, 2, v50
	s_and_saveexec_b64 s[6:7], s[2:3]
	s_cbranch_execz .LBB0_33
; %bb.32:
	v_lshlrev_b32_e32 v0, 2, v21
	v_add3_u32 v0, 0, v15, v0
	ds_write2_b32 v0, v18, v20 offset1:9
	ds_write_b32 v0, v16 offset:72
.LBB0_33:
	s_or_b64 exec, exec, s[6:7]
	v_add_u32_e32 v8, 0xa00, v30
	v_add_u32_e32 v10, 0x1440, v30
	s_waitcnt lgkmcnt(0)
	s_barrier
	ds_read2_b32 v[0:1], v30 offset1:243
	ds_read2_b32 v[8:9], v8 offset0:8 offset1:251
	ds_read2_b32 v[10:11], v10 offset1:243
	s_and_saveexec_b64 s[6:7], s[2:3]
	s_cbranch_execz .LBB0_35
; %bb.34:
	ds_read_b32 v20, v30 offset:4536
	ds_read_b32 v18, v24 offset:1944
	;; [unrolled: 1-line block ×3, first 2 shown]
.LBB0_35:
	s_or_b64 exec, exec, s[6:7]
	v_add_f32_e32 v19, v2, v33
	v_add_f32_e32 v31, v19, v34
	;; [unrolled: 1-line block ×3, first 2 shown]
	v_fma_f32 v2, -0.5, v19, v2
	v_sub_f32_e32 v19, v37, v38
	v_mov_b32_e32 v33, v2
	v_fmac_f32_e32 v33, 0xbf5db3d7, v19
	v_fmac_f32_e32 v2, 0x3f5db3d7, v19
	v_add_f32_e32 v19, v3, v28
	v_add_f32_e32 v34, v19, v32
	;; [unrolled: 1-line block ×3, first 2 shown]
	v_fmac_f32_e32 v3, -0.5, v19
	v_sub_f32_e32 v19, v35, v36
	v_mov_b32_e32 v28, v3
	v_fmac_f32_e32 v28, 0xbf5db3d7, v19
	v_fmac_f32_e32 v3, 0x3f5db3d7, v19
	v_add_f32_e32 v19, v17, v25
	v_add_f32_e32 v19, v19, v12
	;; [unrolled: 1-line block ×3, first 2 shown]
	v_fmac_f32_e32 v17, -0.5, v12
	v_sub_f32_e32 v12, v13, v14
	v_mov_b32_e32 v25, v17
	v_fmac_f32_e32 v25, 0xbf5db3d7, v12
	v_fmac_f32_e32 v17, 0x3f5db3d7, v12
	s_waitcnt lgkmcnt(0)
	s_barrier
	ds_write2_b32 v27, v31, v33 offset1:9
	ds_write_b32 v27, v2 offset:72
	ds_write2_b32 v26, v34, v28 offset1:9
	ds_write_b32 v26, v3 offset:72
	s_and_saveexec_b64 s[6:7], s[2:3]
	s_cbranch_execz .LBB0_37
; %bb.36:
	v_lshlrev_b32_e32 v2, 2, v21
	v_add3_u32 v2, 0, v15, v2
	ds_write2_b32 v2, v19, v25 offset1:9
	ds_write_b32 v2, v17 offset:72
.LBB0_37:
	s_or_b64 exec, exec, s[6:7]
	v_add_u32_e32 v12, 0xa00, v30
	v_add_u32_e32 v14, 0x1440, v30
	s_waitcnt lgkmcnt(0)
	s_barrier
	ds_read2_b32 v[2:3], v30 offset1:243
	ds_read2_b32 v[12:13], v12 offset0:8 offset1:251
	ds_read2_b32 v[14:15], v14 offset1:243
	s_and_saveexec_b64 s[6:7], s[2:3]
	s_cbranch_execz .LBB0_39
; %bb.38:
	ds_read_b32 v25, v30 offset:4536
	ds_read_b32 v19, v24 offset:1944
	;; [unrolled: 1-line block ×3, first 2 shown]
.LBB0_39:
	s_or_b64 exec, exec, s[6:7]
	v_mov_b32_e32 v21, 19
	v_mul_lo_u16_sdwa v21, v29, v21 dst_sel:DWORD dst_unused:UNUSED_PAD src0_sel:BYTE_0 src1_sel:DWORD
	v_lshrrev_b16_e32 v26, 9, v21
	s_movk_i32 s6, 0x2f69
	v_mul_lo_u16_e32 v21, 27, v26
	v_mul_u32_u24_sdwa v28, v23, s6 dst_sel:DWORD dst_unused:UNUSED_PAD src0_sel:WORD_0 src1_sel:DWORD
	v_sub_u16_e32 v27, v29, v21
	v_mov_b32_e32 v21, 4
	v_sub_u16_sdwa v31, v23, v28 dst_sel:DWORD dst_unused:UNUSED_PAD src0_sel:DWORD src1_sel:WORD_1
	v_lshlrev_b32_sdwa v21, v21, v27 dst_sel:DWORD dst_unused:UNUSED_PAD src0_sel:DWORD src1_sel:BYTE_0
	v_lshrrev_b16_e32 v31, 1, v31
	global_load_dwordx4 v[32:35], v21, s[8:9] offset:192
	v_add_u16_sdwa v21, v31, v28 dst_sel:DWORD dst_unused:UNUSED_PAD src0_sel:DWORD src1_sel:WORD_1
	v_lshrrev_b16_e32 v28, 4, v21
	v_mul_lo_u16_e32 v21, 27, v28
	v_sub_u16_e32 v31, v23, v21
	v_lshlrev_b32_e32 v21, 4, v31
	global_load_dwordx4 v[36:39], v21, s[8:9] offset:192
	v_mul_u32_u24_sdwa v21, v22, s6 dst_sel:DWORD dst_unused:UNUSED_PAD src0_sel:WORD_0 src1_sel:DWORD
	v_sub_u16_sdwa v40, v22, v21 dst_sel:DWORD dst_unused:UNUSED_PAD src0_sel:DWORD src1_sel:WORD_1
	v_lshrrev_b16_e32 v40, 1, v40
	v_add_u16_sdwa v21, v40, v21 dst_sel:DWORD dst_unused:UNUSED_PAD src0_sel:DWORD src1_sel:WORD_1
	v_lshrrev_b16_e32 v21, 4, v21
	v_mul_lo_u16_e32 v40, 27, v21
	v_sub_u16_e32 v44, v22, v40
	v_lshlrev_b32_e32 v40, 4, v44
	global_load_dwordx4 v[40:43], v40, s[8:9] offset:192
	v_mov_b32_e32 v45, 2
	v_mul_u32_u24_e32 v26, 0x144, v26
	v_lshlrev_b32_sdwa v27, v45, v27 dst_sel:DWORD dst_unused:UNUSED_PAD src0_sel:DWORD src1_sel:BYTE_0
	v_add3_u32 v27, 0, v26, v27
	v_mul_u32_u24_e32 v26, 0x144, v28
	v_lshlrev_b32_e32 v28, 2, v31
	v_add3_u32 v28, 0, v26, v28
	s_waitcnt vmcnt(0) lgkmcnt(0)
	s_barrier
	v_mul_f32_e32 v45, v12, v33
	v_mul_f32_e32 v26, v8, v33
	;; [unrolled: 1-line block ×4, first 2 shown]
	v_fma_f32 v8, v8, v32, -v45
	v_fmac_f32_e32 v26, v12, v32
	v_fma_f32 v32, v10, v34, -v33
	v_fmac_f32_e32 v31, v14, v34
	v_add_f32_e32 v34, v0, v8
	v_add_f32_e32 v35, v8, v32
	v_mul_f32_e32 v46, v13, v37
	v_mul_f32_e32 v10, v9, v37
	;; [unrolled: 1-line block ×4, first 2 shown]
	v_sub_f32_e32 v45, v26, v31
	v_mul_f32_e32 v39, v25, v41
	v_mul_f32_e32 v12, v20, v41
	;; [unrolled: 1-line block ×4, first 2 shown]
	v_add_f32_e32 v43, v34, v32
	v_fma_f32 v0, -0.5, v35, v0
	v_fma_f32 v34, v9, v36, -v46
	v_fmac_f32_e32 v10, v13, v36
	v_fma_f32 v13, v11, v38, -v37
	v_fma_f32 v9, v20, v40, -v39
	;; [unrolled: 1-line block ×3, first 2 shown]
	v_fmac_f32_e32 v33, v15, v38
	v_fmac_f32_e32 v12, v25, v40
	;; [unrolled: 1-line block ×3, first 2 shown]
	v_mov_b32_e32 v17, v0
	v_fmac_f32_e32 v0, 0xbf5db3d7, v45
	v_add_f32_e32 v16, v1, v34
	v_add_f32_e32 v20, v34, v13
	v_add_f32_e32 v25, v9, v11
	v_fmac_f32_e32 v17, 0x3f5db3d7, v45
	v_sub_f32_e32 v35, v10, v33
	ds_write_b32 v27, v0 offset:216
	v_add_f32_e32 v0, v16, v13
	v_fmac_f32_e32 v1, -0.5, v20
	v_fma_f32 v16, -0.5, v25, v18
	v_sub_f32_e32 v15, v12, v14
	ds_write2_b32 v27, v43, v17 offset1:27
	v_mov_b32_e32 v17, v1
	v_fmac_f32_e32 v1, 0xbf5db3d7, v35
	v_mov_b32_e32 v25, v16
	v_fmac_f32_e32 v17, 0x3f5db3d7, v35
	v_fmac_f32_e32 v25, 0xbf5db3d7, v15
	ds_write_b32 v28, v1 offset:216
	ds_write2_b32 v28, v0, v17 offset1:27
	v_lshlrev_b32_e32 v0, 2, v44
	s_and_saveexec_b64 s[6:7], s[2:3]
	s_cbranch_execz .LBB0_41
; %bb.40:
	v_mul_f32_e32 v1, 0x3f5db3d7, v15
	v_add_f32_e32 v1, v1, v16
	v_mul_lo_u16_e32 v16, 0x51, v21
	v_add_f32_e32 v15, v18, v9
	v_lshlrev_b32_e32 v16, 2, v16
	v_add_f32_e32 v15, v15, v11
	v_add3_u32 v16, 0, v0, v16
	ds_write2_b32 v16, v15, v1 offset1:27
	ds_write_b32 v16, v25 offset:216
.LBB0_41:
	s_or_b64 exec, exec, s[6:7]
	v_add_f32_e32 v1, v2, v26
	v_add_f32_e32 v35, v1, v31
	;; [unrolled: 1-line block ×3, first 2 shown]
	v_fma_f32 v36, -0.5, v1, v2
	v_sub_f32_e32 v1, v8, v32
	v_mov_b32_e32 v32, v36
	v_fmac_f32_e32 v32, 0xbf5db3d7, v1
	v_fmac_f32_e32 v36, 0x3f5db3d7, v1
	v_add_f32_e32 v1, v3, v10
	v_add_f32_e32 v37, v1, v33
	;; [unrolled: 1-line block ×3, first 2 shown]
	v_add_u32_e32 v15, 0xb40, v30
	v_add_u32_e32 v31, 0x12e0, v30
	v_fmac_f32_e32 v3, -0.5, v1
	v_sub_f32_e32 v2, v9, v11
	s_waitcnt lgkmcnt(0)
	s_barrier
	ds_read2_b32 v[10:11], v30 offset1:243
	ds_read2_b32 v[8:9], v15 offset0:9 offset1:252
	ds_read2_b32 v[16:17], v31 offset0:7 offset1:250
	ds_read_b32 v20, v24 offset:1944
	ds_read_b32 v18, v30 offset:6804
	v_sub_f32_e32 v1, v34, v13
	v_mov_b32_e32 v13, v3
	v_fmac_f32_e32 v13, 0xbf5db3d7, v1
	v_fmac_f32_e32 v3, 0x3f5db3d7, v1
	v_add_f32_e32 v1, v12, v14
	v_fma_f32 v1, -0.5, v1, v19
	v_mov_b32_e32 v26, v1
	v_fmac_f32_e32 v26, 0x3f5db3d7, v2
	s_waitcnt lgkmcnt(0)
	s_barrier
	ds_write2_b32 v27, v35, v32 offset1:27
	ds_write_b32 v27, v36 offset:216
	ds_write2_b32 v28, v37, v13 offset1:27
	ds_write_b32 v28, v3 offset:216
	s_and_saveexec_b64 s[6:7], s[2:3]
	s_cbranch_execz .LBB0_43
; %bb.42:
	v_mul_f32_e32 v2, 0x3f5db3d7, v2
	v_sub_f32_e32 v1, v1, v2
	v_mul_lo_u16_e32 v2, 0x51, v21
	v_add_f32_e32 v3, v19, v12
	v_lshlrev_b32_e32 v2, 2, v2
	v_add_f32_e32 v3, v3, v14
	v_add3_u32 v0, 0, v0, v2
	ds_write2_b32 v0, v3, v1 offset1:27
	ds_write_b32 v0, v26 offset:216
.LBB0_43:
	s_or_b64 exec, exec, s[6:7]
	s_movk_i32 s6, 0xcb
	v_mul_lo_u16_sdwa v0, v29, s6 dst_sel:DWORD dst_unused:UNUSED_PAD src0_sel:BYTE_0 src1_sel:DWORD
	v_lshrrev_b16_e32 v19, 14, v0
	v_mul_lo_u16_e32 v0, 0x51, v19
	v_sub_u16_e32 v21, v29, v0
	v_mov_b32_e32 v0, 7
	v_mul_u32_u24_sdwa v0, v21, v0 dst_sel:DWORD dst_unused:UNUSED_PAD src0_sel:BYTE_0 src1_sel:DWORD
	v_lshlrev_b32_e32 v12, 3, v0
	s_waitcnt lgkmcnt(0)
	s_barrier
	global_load_dwordx4 v[32:35], v12, s[8:9] offset:656
	global_load_dwordx4 v[36:39], v12, s[8:9] offset:624
	;; [unrolled: 1-line block ×3, first 2 shown]
	global_load_dwordx2 v[40:41], v12, s[8:9] offset:672
	ds_read2_b32 v[12:13], v30 offset1:243
	ds_read_b32 v27, v24 offset:1944
	ds_read2_b32 v[14:15], v15 offset0:9 offset1:252
	ds_read2_b32 v[42:43], v31 offset0:7 offset1:250
	ds_read_b32 v44, v30 offset:6804
	v_mov_b32_e32 v28, 2
	v_mul_u32_u24_e32 v19, 0xa20, v19
	v_lshlrev_b32_sdwa v21, v28, v21 dst_sel:DWORD dst_unused:UNUSED_PAD src0_sel:DWORD src1_sel:BYTE_0
	v_add3_u32 v19, 0, v19, v21
	v_add_u32_e32 v28, 0x600, v19
	s_waitcnt vmcnt(0) lgkmcnt(0)
	s_barrier
	v_add_u32_e32 v21, 0x400, v19
	v_mul_f32_e32 v46, v43, v35
	v_mul_f32_e32 v35, v17, v35
	;; [unrolled: 1-line block ×13, first 2 shown]
	v_fmac_f32_e32 v35, v43, v34
	v_fmac_f32_e32 v31, v27, v38
	;; [unrolled: 1-line block ×3, first 2 shown]
	v_fma_f32 v13, v8, v0, -v39
	v_fmac_f32_e32 v49, v14, v0
	v_fma_f32 v0, v9, v2, -v1
	v_fma_f32 v16, v16, v32, -v45
	v_fma_f32 v17, v17, v34, -v46
	v_fmac_f32_e32 v33, v42, v32
	v_fma_f32 v20, v20, v38, -v48
	v_fma_f32 v11, v11, v36, -v47
	;; [unrolled: 1-line block ×3, first 2 shown]
	v_fmac_f32_e32 v41, v44, v40
	v_sub_f32_e32 v0, v10, v0
	v_sub_f32_e32 v8, v31, v35
	;; [unrolled: 1-line block ×8, first 2 shown]
	v_fma_f32 v10, v10, 2.0, -v0
	v_fma_f32 v20, v20, 2.0, -v1
	;; [unrolled: 1-line block ×4, first 2 shown]
	v_sub_f32_e32 v35, v16, v27
	v_fma_f32 v34, v0, 2.0, -v33
	v_fma_f32 v18, v37, 2.0, -v17
	;; [unrolled: 1-line block ×3, first 2 shown]
	v_add_f32_e32 v36, v17, v14
	v_sub_f32_e32 v14, v10, v20
	v_sub_f32_e32 v20, v11, v13
	v_fma_f32 v37, v16, 2.0, -v35
	v_mov_b32_e32 v27, v33
	v_mov_b32_e32 v13, v34
	v_sub_f32_e32 v32, v18, v32
	v_fma_f32 v38, v17, 2.0, -v36
	v_fma_f32 v10, v10, 2.0, -v14
	;; [unrolled: 1-line block ×3, first 2 shown]
	v_fmac_f32_e32 v27, 0x3f3504f3, v35
	v_fmac_f32_e32 v13, 0xbf3504f3, v37
	v_sub_f32_e32 v0, v14, v32
	v_sub_f32_e32 v11, v10, v11
	v_fmac_f32_e32 v27, 0xbf3504f3, v36
	v_fmac_f32_e32 v13, 0xbf3504f3, v38
	v_fma_f32 v14, v14, 2.0, -v0
	v_fma_f32 v10, v10, 2.0, -v11
	;; [unrolled: 1-line block ×4, first 2 shown]
	v_add_u32_e32 v33, 0xa00, v30
	v_add_u32_e32 v34, 0x1440, v30
	ds_write2_b32 v28, v0, v27 offset0:102 offset1:183
	ds_write2_b32 v19, v14, v16 offset0:162 offset1:243
	;; [unrolled: 1-line block ×3, first 2 shown]
	ds_write2_b32 v19, v10, v17 offset1:81
	s_waitcnt lgkmcnt(0)
	s_barrier
	ds_read2_b32 v[10:11], v30 offset1:243
	ds_read2_b32 v[13:14], v33 offset0:8 offset1:251
	ds_read2_b32 v[16:17], v34 offset1:243
	v_mul_f32_e32 v37, 0x3f3504f3, v37
	v_mul_f32_e32 v38, 0x3f3504f3, v38
	;; [unrolled: 1-line block ×4, first 2 shown]
	s_and_saveexec_b64 s[6:7], s[2:3]
	s_cbranch_execz .LBB0_45
; %bb.44:
	ds_read_b32 v27, v30 offset:4536
	ds_read_b32 v0, v24 offset:1944
	;; [unrolled: 1-line block ×3, first 2 shown]
.LBB0_45:
	s_or_b64 exec, exec, s[6:7]
	v_mul_f32_e32 v3, v9, v3
	v_fmac_f32_e32 v3, v15, v2
	v_sub_f32_e32 v2, v12, v3
	v_add_f32_e32 v9, v2, v1
	v_fma_f32 v3, v12, 2.0, -v2
	v_fma_f32 v8, v31, 2.0, -v8
	;; [unrolled: 1-line block ×3, first 2 shown]
	v_sub_f32_e32 v8, v3, v8
	v_sub_f32_e32 v12, v1, v38
	v_fma_f32 v3, v3, 2.0, -v8
	v_fma_f32 v2, v18, 2.0, -v32
	v_add_f32_e32 v15, v37, v12
	v_add_f32_e32 v12, v9, v36
	v_sub_f32_e32 v2, v3, v2
	v_fma_f32 v18, v1, 2.0, -v15
	v_add_f32_e32 v1, v8, v20
	v_add_f32_e32 v12, v35, v12
	v_fma_f32 v3, v3, 2.0, -v2
	v_fma_f32 v8, v8, 2.0, -v1
	;; [unrolled: 1-line block ×3, first 2 shown]
	s_waitcnt lgkmcnt(0)
	s_barrier
	ds_write2_b32 v19, v3, v18 offset1:81
	ds_write2_b32 v19, v8, v9 offset0:162 offset1:243
	ds_write2_b32 v21, v2, v15 offset0:68 offset1:149
	;; [unrolled: 1-line block ×3, first 2 shown]
	s_waitcnt lgkmcnt(0)
	s_barrier
	ds_read2_b32 v[8:9], v30 offset1:243
	ds_read2_b32 v[18:19], v33 offset0:8 offset1:251
	ds_read2_b32 v[20:21], v34 offset1:243
	s_and_saveexec_b64 s[6:7], s[2:3]
	s_cbranch_execz .LBB0_47
; %bb.46:
	ds_read_b32 v12, v30 offset:4536
	ds_read_b32 v1, v24 offset:1944
	;; [unrolled: 1-line block ×3, first 2 shown]
.LBB0_47:
	s_or_b64 exec, exec, s[6:7]
	s_and_saveexec_b64 s[6:7], s[0:1]
	s_cbranch_execz .LBB0_50
; %bb.48:
	v_lshlrev_b32_e32 v2, 1, v23
	v_mov_b32_e32 v3, 0
	v_lshlrev_b64 v[23:24], 3, v[2:3]
	v_mov_b32_e32 v15, s9
	v_add_co_u32_e32 v2, vcc, s8, v23
	v_addc_co_u32_e32 v24, vcc, v15, v24, vcc
	v_add_co_u32_e32 v23, vcc, 0x1000, v2
	v_addc_co_u32_e32 v24, vcc, 0, v24, vcc
	v_lshlrev_b32_e32 v2, 1, v29
	global_load_dwordx4 v[30:33], v[23:24], off offset:1064
	v_lshlrev_b64 v[23:24], 3, v[2:3]
	s_movk_i32 s6, 0x1000
	v_add_co_u32_e32 v2, vcc, s8, v23
	v_addc_co_u32_e32 v15, vcc, v15, v24, vcc
	v_add_co_u32_e32 v23, vcc, s6, v2
	v_addc_co_u32_e32 v24, vcc, 0, v15, vcc
	global_load_dwordx4 v[34:37], v[23:24], off offset:1064
	v_mul_lo_u32 v2, s5, v6
	v_mul_lo_u32 v15, s4, v7
	v_mad_u64_u32 v[6:7], s[0:1], s4, v6, 0
	s_mov_b32 s0, 0xca4587e7
	v_mul_hi_u32 v23, v29, s0
	v_add3_u32 v7, v7, v15, v2
	v_lshlrev_b64 v[6:7], 3, v[6:7]
	v_mov_b32_e32 v24, s15
	v_lshlrev_b64 v[4:5], 3, v[4:5]
	v_lshrrev_b32_e32 v2, 9, v23
	v_add_co_u32_e32 v6, vcc, s14, v6
	v_mul_u32_u24_e32 v2, 0x288, v2
	v_addc_co_u32_e32 v7, vcc, v24, v7, vcc
	v_sub_u32_e32 v2, v29, v2
	v_add_co_u32_e32 v6, vcc, v6, v4
	v_addc_co_u32_e32 v7, vcc, v7, v5, vcc
	v_lshlrev_b32_e32 v2, 3, v2
	v_add_co_u32_e32 v4, vcc, v6, v2
	v_addc_co_u32_e32 v5, vcc, 0, v7, vcc
	v_add_u32_e32 v2, 0xf3, v29
	s_movk_i32 s4, 0x2000
	s_movk_i32 s1, 0x288
	s_waitcnt vmcnt(1) lgkmcnt(1)
	v_mul_f32_e32 v15, v19, v31
	s_waitcnt lgkmcnt(0)
	v_mul_f32_e32 v23, v21, v33
	v_mul_f32_e32 v24, v14, v31
	;; [unrolled: 1-line block ×3, first 2 shown]
	v_fma_f32 v14, v14, v30, -v15
	v_fma_f32 v15, v17, v32, -v23
	v_fmac_f32_e32 v24, v19, v30
	v_fmac_f32_e32 v28, v21, v32
	v_sub_f32_e32 v21, v14, v15
	v_sub_f32_e32 v23, v24, v28
	v_add_f32_e32 v19, v9, v24
	s_waitcnt vmcnt(0)
	v_mul_f32_e32 v31, v18, v35
	v_mul_f32_e32 v33, v20, v37
	;; [unrolled: 1-line block ×4, first 2 shown]
	v_fma_f32 v13, v13, v34, -v31
	v_fma_f32 v17, v16, v36, -v33
	v_fmac_f32_e32 v35, v18, v34
	v_fmac_f32_e32 v37, v20, v36
	v_add_f32_e32 v16, v24, v28
	v_add_f32_e32 v18, v14, v15
	;; [unrolled: 1-line block ×7, first 2 shown]
	v_sub_f32_e32 v24, v13, v17
	v_fma_f32 v14, -0.5, v16, v9
	v_fma_f32 v13, -0.5, v18, v11
	;; [unrolled: 1-line block ×4, first 2 shown]
	v_add_f32_e32 v11, v33, v37
	v_add_f32_e32 v10, v34, v17
	v_sub_f32_e32 v32, v35, v37
	global_store_dwordx2 v[4:5], v[10:11], off
	v_add_co_u32_e32 v10, vcc, s6, v4
	v_add_f32_e32 v16, v19, v28
	v_add_f32_e32 v15, v20, v15
	v_mov_b32_e32 v20, v9
	v_mov_b32_e32 v19, v8
	v_fmac_f32_e32 v9, 0xbf5db3d7, v24
	v_fmac_f32_e32 v8, 0x3f5db3d7, v32
	v_addc_co_u32_e32 v11, vcc, 0, v5, vcc
	global_store_dwordx2 v[10:11], v[8:9], off offset:1088
	v_mul_hi_u32 v8, v2, s0
	v_add_co_u32_e32 v4, vcc, s4, v4
	v_fmac_f32_e32 v20, 0x3f5db3d7, v24
	v_fmac_f32_e32 v19, 0xbf5db3d7, v32
	v_addc_co_u32_e32 v5, vcc, 0, v5, vcc
	global_store_dwordx2 v[4:5], v[19:20], off offset:2176
	v_lshrrev_b32_e32 v4, 9, v8
	v_mul_u32_u24_e32 v5, 0x288, v4
	v_sub_u32_e32 v2, v2, v5
	s_movk_i32 s0, 0x798
	v_mad_u32_u24 v2, v4, s0, v2
	v_lshlrev_b64 v[4:5], 3, v[2:3]
	v_mov_b32_e32 v18, v14
	v_add_co_u32_e32 v4, vcc, v6, v4
	v_addc_co_u32_e32 v5, vcc, v7, v5, vcc
	global_store_dwordx2 v[4:5], v[15:16], off
	v_add_u32_e32 v4, 0x288, v2
	v_mov_b32_e32 v5, v3
	v_lshlrev_b64 v[4:5], 3, v[4:5]
	v_mov_b32_e32 v17, v13
	v_add_co_u32_e32 v4, vcc, v6, v4
	v_fmac_f32_e32 v14, 0xbf5db3d7, v21
	v_fmac_f32_e32 v13, 0x3f5db3d7, v23
	v_addc_co_u32_e32 v5, vcc, v7, v5, vcc
	v_add_u32_e32 v2, 0x510, v2
	global_store_dwordx2 v[4:5], v[13:14], off
	v_lshlrev_b64 v[4:5], 3, v[2:3]
	v_fmac_f32_e32 v18, 0x3f5db3d7, v21
	v_add_co_u32_e32 v4, vcc, v6, v4
	v_fmac_f32_e32 v17, 0xbf5db3d7, v23
	v_addc_co_u32_e32 v5, vcc, v7, v5, vcc
	global_store_dwordx2 v[4:5], v[17:18], off
	v_add_u32_e32 v4, 0x1e6, v29
	v_cmp_gt_u32_e32 vcc, s1, v4
	s_and_b64 exec, exec, vcc
	s_cbranch_execz .LBB0_50
; %bb.49:
	v_add_u32_e32 v2, 0xffffff5e, v29
	v_cndmask_b32_e64 v2, v2, v22, s[2:3]
	v_lshlrev_b32_e32 v2, 1, v2
	v_lshlrev_b64 v[8:9], 3, v[2:3]
	v_mov_b32_e32 v2, s9
	v_add_co_u32_e32 v5, vcc, s8, v8
	v_addc_co_u32_e32 v2, vcc, v2, v9, vcc
	v_add_co_u32_e32 v8, vcc, 0x1000, v5
	v_addc_co_u32_e32 v9, vcc, 0, v2, vcc
	global_load_dwordx4 v[8:11], v[8:9], off offset:1064
	v_mov_b32_e32 v5, v3
	v_lshlrev_b64 v[4:5], 3, v[4:5]
	v_add_u32_e32 v2, 0x46e, v29
	v_add_co_u32_e32 v4, vcc, v6, v4
	v_lshlrev_b64 v[13:14], 3, v[2:3]
	v_addc_co_u32_e32 v5, vcc, v7, v5, vcc
	v_add_u32_e32 v2, 0x6f6, v29
	v_lshlrev_b64 v[2:3], 3, v[2:3]
	v_add_co_u32_e32 v13, vcc, v6, v13
	v_addc_co_u32_e32 v14, vcc, v7, v14, vcc
	v_add_co_u32_e32 v2, vcc, v6, v2
	v_addc_co_u32_e32 v3, vcc, v7, v3, vcc
	s_waitcnt vmcnt(0)
	v_mul_f32_e32 v6, v12, v9
	v_mul_f32_e32 v7, v27, v9
	;; [unrolled: 1-line block ×4, first 2 shown]
	v_fma_f32 v6, v27, v8, -v6
	v_fmac_f32_e32 v7, v12, v8
	v_fma_f32 v8, v25, v10, -v9
	v_fmac_f32_e32 v11, v26, v10
	v_add_f32_e32 v10, v6, v8
	v_add_f32_e32 v16, v7, v11
	;; [unrolled: 1-line block ×4, first 2 shown]
	v_fmac_f32_e32 v0, -0.5, v10
	v_fmac_f32_e32 v1, -0.5, v16
	v_sub_f32_e32 v12, v7, v11
	v_sub_f32_e32 v17, v6, v8
	v_add_f32_e32 v6, v9, v8
	v_mov_b32_e32 v8, v0
	v_mov_b32_e32 v9, v1
	v_add_f32_e32 v7, v15, v11
	v_fmac_f32_e32 v8, 0x3f5db3d7, v12
	v_fmac_f32_e32 v9, 0xbf5db3d7, v17
	;; [unrolled: 1-line block ×4, first 2 shown]
	global_store_dwordx2 v[4:5], v[6:7], off
	global_store_dwordx2 v[13:14], v[8:9], off
	;; [unrolled: 1-line block ×3, first 2 shown]
.LBB0_50:
	s_endpgm
	.section	.rodata,"a",@progbits
	.p2align	6, 0x0
	.amdhsa_kernel fft_rtc_fwd_len1944_factors_3_3_3_3_8_3_wgs_243_tpt_243_halfLds_sp_op_CI_CI_unitstride_sbrr_dirReg
		.amdhsa_group_segment_fixed_size 0
		.amdhsa_private_segment_fixed_size 0
		.amdhsa_kernarg_size 104
		.amdhsa_user_sgpr_count 6
		.amdhsa_user_sgpr_private_segment_buffer 1
		.amdhsa_user_sgpr_dispatch_ptr 0
		.amdhsa_user_sgpr_queue_ptr 0
		.amdhsa_user_sgpr_kernarg_segment_ptr 1
		.amdhsa_user_sgpr_dispatch_id 0
		.amdhsa_user_sgpr_flat_scratch_init 0
		.amdhsa_user_sgpr_private_segment_size 0
		.amdhsa_uses_dynamic_stack 0
		.amdhsa_system_sgpr_private_segment_wavefront_offset 0
		.amdhsa_system_sgpr_workgroup_id_x 1
		.amdhsa_system_sgpr_workgroup_id_y 0
		.amdhsa_system_sgpr_workgroup_id_z 0
		.amdhsa_system_sgpr_workgroup_info 0
		.amdhsa_system_vgpr_workitem_id 0
		.amdhsa_next_free_vgpr 51
		.amdhsa_next_free_sgpr 28
		.amdhsa_reserve_vcc 1
		.amdhsa_reserve_flat_scratch 0
		.amdhsa_float_round_mode_32 0
		.amdhsa_float_round_mode_16_64 0
		.amdhsa_float_denorm_mode_32 3
		.amdhsa_float_denorm_mode_16_64 3
		.amdhsa_dx10_clamp 1
		.amdhsa_ieee_mode 1
		.amdhsa_fp16_overflow 0
		.amdhsa_exception_fp_ieee_invalid_op 0
		.amdhsa_exception_fp_denorm_src 0
		.amdhsa_exception_fp_ieee_div_zero 0
		.amdhsa_exception_fp_ieee_overflow 0
		.amdhsa_exception_fp_ieee_underflow 0
		.amdhsa_exception_fp_ieee_inexact 0
		.amdhsa_exception_int_div_zero 0
	.end_amdhsa_kernel
	.text
.Lfunc_end0:
	.size	fft_rtc_fwd_len1944_factors_3_3_3_3_8_3_wgs_243_tpt_243_halfLds_sp_op_CI_CI_unitstride_sbrr_dirReg, .Lfunc_end0-fft_rtc_fwd_len1944_factors_3_3_3_3_8_3_wgs_243_tpt_243_halfLds_sp_op_CI_CI_unitstride_sbrr_dirReg
                                        ; -- End function
	.section	.AMDGPU.csdata,"",@progbits
; Kernel info:
; codeLenInByte = 6504
; NumSgprs: 32
; NumVgprs: 51
; ScratchSize: 0
; MemoryBound: 0
; FloatMode: 240
; IeeeMode: 1
; LDSByteSize: 0 bytes/workgroup (compile time only)
; SGPRBlocks: 3
; VGPRBlocks: 12
; NumSGPRsForWavesPerEU: 32
; NumVGPRsForWavesPerEU: 51
; Occupancy: 4
; WaveLimiterHint : 1
; COMPUTE_PGM_RSRC2:SCRATCH_EN: 0
; COMPUTE_PGM_RSRC2:USER_SGPR: 6
; COMPUTE_PGM_RSRC2:TRAP_HANDLER: 0
; COMPUTE_PGM_RSRC2:TGID_X_EN: 1
; COMPUTE_PGM_RSRC2:TGID_Y_EN: 0
; COMPUTE_PGM_RSRC2:TGID_Z_EN: 0
; COMPUTE_PGM_RSRC2:TIDIG_COMP_CNT: 0
	.type	__hip_cuid_420c062fc4713fe4,@object ; @__hip_cuid_420c062fc4713fe4
	.section	.bss,"aw",@nobits
	.globl	__hip_cuid_420c062fc4713fe4
__hip_cuid_420c062fc4713fe4:
	.byte	0                               ; 0x0
	.size	__hip_cuid_420c062fc4713fe4, 1

	.ident	"AMD clang version 19.0.0git (https://github.com/RadeonOpenCompute/llvm-project roc-6.4.0 25133 c7fe45cf4b819c5991fe208aaa96edf142730f1d)"
	.section	".note.GNU-stack","",@progbits
	.addrsig
	.addrsig_sym __hip_cuid_420c062fc4713fe4
	.amdgpu_metadata
---
amdhsa.kernels:
  - .args:
      - .actual_access:  read_only
        .address_space:  global
        .offset:         0
        .size:           8
        .value_kind:     global_buffer
      - .offset:         8
        .size:           8
        .value_kind:     by_value
      - .actual_access:  read_only
        .address_space:  global
        .offset:         16
        .size:           8
        .value_kind:     global_buffer
      - .actual_access:  read_only
        .address_space:  global
        .offset:         24
        .size:           8
        .value_kind:     global_buffer
      - .actual_access:  read_only
        .address_space:  global
        .offset:         32
        .size:           8
        .value_kind:     global_buffer
      - .offset:         40
        .size:           8
        .value_kind:     by_value
      - .actual_access:  read_only
        .address_space:  global
        .offset:         48
        .size:           8
        .value_kind:     global_buffer
      - .actual_access:  read_only
        .address_space:  global
        .offset:         56
        .size:           8
        .value_kind:     global_buffer
      - .offset:         64
        .size:           4
        .value_kind:     by_value
      - .actual_access:  read_only
        .address_space:  global
        .offset:         72
        .size:           8
        .value_kind:     global_buffer
      - .actual_access:  read_only
        .address_space:  global
        .offset:         80
        .size:           8
        .value_kind:     global_buffer
      - .actual_access:  read_only
        .address_space:  global
        .offset:         88
        .size:           8
        .value_kind:     global_buffer
      - .actual_access:  write_only
        .address_space:  global
        .offset:         96
        .size:           8
        .value_kind:     global_buffer
    .group_segment_fixed_size: 0
    .kernarg_segment_align: 8
    .kernarg_segment_size: 104
    .language:       OpenCL C
    .language_version:
      - 2
      - 0
    .max_flat_workgroup_size: 243
    .name:           fft_rtc_fwd_len1944_factors_3_3_3_3_8_3_wgs_243_tpt_243_halfLds_sp_op_CI_CI_unitstride_sbrr_dirReg
    .private_segment_fixed_size: 0
    .sgpr_count:     32
    .sgpr_spill_count: 0
    .symbol:         fft_rtc_fwd_len1944_factors_3_3_3_3_8_3_wgs_243_tpt_243_halfLds_sp_op_CI_CI_unitstride_sbrr_dirReg.kd
    .uniform_work_group_size: 1
    .uses_dynamic_stack: false
    .vgpr_count:     51
    .vgpr_spill_count: 0
    .wavefront_size: 64
amdhsa.target:   amdgcn-amd-amdhsa--gfx906
amdhsa.version:
  - 1
  - 2
...

	.end_amdgpu_metadata
